;; amdgpu-corpus repo=ROCm/rocFFT kind=compiled arch=gfx1201 opt=O3
	.text
	.amdgcn_target "amdgcn-amd-amdhsa--gfx1201"
	.amdhsa_code_object_version 6
	.protected	fft_rtc_fwd_len693_factors_11_7_9_wgs_99_tpt_99_halfLds_dp_ip_CI_sbrr_dirReg ; -- Begin function fft_rtc_fwd_len693_factors_11_7_9_wgs_99_tpt_99_halfLds_dp_ip_CI_sbrr_dirReg
	.globl	fft_rtc_fwd_len693_factors_11_7_9_wgs_99_tpt_99_halfLds_dp_ip_CI_sbrr_dirReg
	.p2align	8
	.type	fft_rtc_fwd_len693_factors_11_7_9_wgs_99_tpt_99_halfLds_dp_ip_CI_sbrr_dirReg,@function
fft_rtc_fwd_len693_factors_11_7_9_wgs_99_tpt_99_halfLds_dp_ip_CI_sbrr_dirReg: ; @fft_rtc_fwd_len693_factors_11_7_9_wgs_99_tpt_99_halfLds_dp_ip_CI_sbrr_dirReg
; %bb.0:
	s_clause 0x2
	s_load_b64 s[12:13], s[0:1], 0x18
	s_load_b128 s[4:7], s[0:1], 0x0
	s_load_b64 s[10:11], s[0:1], 0x50
	v_mul_u32_u24_e32 v1, 0x296, v0
	v_mov_b32_e32 v3, 0
	s_delay_alu instid0(VALU_DEP_2) | instskip(NEXT) | instid1(VALU_DEP_1)
	v_lshrrev_b32_e32 v1, 16, v1
	v_add_nc_u32_e32 v5, ttmp9, v1
	v_mov_b32_e32 v1, 0
	v_mov_b32_e32 v2, 0
	;; [unrolled: 1-line block ×3, first 2 shown]
	s_wait_kmcnt 0x0
	s_load_b64 s[8:9], s[12:13], 0x0
	v_cmp_lt_u64_e64 s2, s[6:7], 2
	s_delay_alu instid0(VALU_DEP_1)
	s_and_b32 vcc_lo, exec_lo, s2
	s_cbranch_vccnz .LBB0_8
; %bb.1:
	s_load_b64 s[2:3], s[0:1], 0x10
	v_mov_b32_e32 v1, 0
	v_mov_b32_e32 v2, 0
	s_add_nc_u64 s[14:15], s[12:13], 8
	s_mov_b64 s[16:17], 1
	s_wait_kmcnt 0x0
	s_add_nc_u64 s[18:19], s[2:3], 8
	s_mov_b32 s3, 0
.LBB0_2:                                ; =>This Inner Loop Header: Depth=1
	s_load_b64 s[20:21], s[18:19], 0x0
                                        ; implicit-def: $vgpr7_vgpr8
	s_mov_b32 s2, exec_lo
	s_wait_kmcnt 0x0
	v_or_b32_e32 v4, s21, v6
	s_delay_alu instid0(VALU_DEP_1)
	v_cmpx_ne_u64_e32 0, v[3:4]
	s_wait_alu 0xfffe
	s_xor_b32 s22, exec_lo, s2
	s_cbranch_execz .LBB0_4
; %bb.3:                                ;   in Loop: Header=BB0_2 Depth=1
	s_cvt_f32_u32 s2, s20
	s_cvt_f32_u32 s23, s21
	s_sub_nc_u64 s[26:27], 0, s[20:21]
	s_wait_alu 0xfffe
	s_delay_alu instid0(SALU_CYCLE_1) | instskip(SKIP_1) | instid1(SALU_CYCLE_2)
	s_fmamk_f32 s2, s23, 0x4f800000, s2
	s_wait_alu 0xfffe
	v_s_rcp_f32 s2, s2
	s_delay_alu instid0(TRANS32_DEP_1) | instskip(SKIP_1) | instid1(SALU_CYCLE_2)
	s_mul_f32 s2, s2, 0x5f7ffffc
	s_wait_alu 0xfffe
	s_mul_f32 s23, s2, 0x2f800000
	s_wait_alu 0xfffe
	s_delay_alu instid0(SALU_CYCLE_2) | instskip(SKIP_1) | instid1(SALU_CYCLE_2)
	s_trunc_f32 s23, s23
	s_wait_alu 0xfffe
	s_fmamk_f32 s2, s23, 0xcf800000, s2
	s_cvt_u32_f32 s25, s23
	s_wait_alu 0xfffe
	s_delay_alu instid0(SALU_CYCLE_1) | instskip(SKIP_1) | instid1(SALU_CYCLE_2)
	s_cvt_u32_f32 s24, s2
	s_wait_alu 0xfffe
	s_mul_u64 s[28:29], s[26:27], s[24:25]
	s_wait_alu 0xfffe
	s_mul_hi_u32 s31, s24, s29
	s_mul_i32 s30, s24, s29
	s_mul_hi_u32 s2, s24, s28
	s_mul_i32 s33, s25, s28
	s_wait_alu 0xfffe
	s_add_nc_u64 s[30:31], s[2:3], s[30:31]
	s_mul_hi_u32 s23, s25, s28
	s_mul_hi_u32 s34, s25, s29
	s_add_co_u32 s2, s30, s33
	s_wait_alu 0xfffe
	s_add_co_ci_u32 s2, s31, s23
	s_mul_i32 s28, s25, s29
	s_add_co_ci_u32 s29, s34, 0
	s_wait_alu 0xfffe
	s_add_nc_u64 s[28:29], s[2:3], s[28:29]
	s_wait_alu 0xfffe
	v_add_co_u32 v4, s2, s24, s28
	s_delay_alu instid0(VALU_DEP_1) | instskip(SKIP_1) | instid1(VALU_DEP_1)
	s_cmp_lg_u32 s2, 0
	s_add_co_ci_u32 s25, s25, s29
	v_readfirstlane_b32 s24, v4
	s_wait_alu 0xfffe
	s_delay_alu instid0(VALU_DEP_1)
	s_mul_u64 s[26:27], s[26:27], s[24:25]
	s_wait_alu 0xfffe
	s_mul_hi_u32 s29, s24, s27
	s_mul_i32 s28, s24, s27
	s_mul_hi_u32 s2, s24, s26
	s_mul_i32 s30, s25, s26
	s_wait_alu 0xfffe
	s_add_nc_u64 s[28:29], s[2:3], s[28:29]
	s_mul_hi_u32 s23, s25, s26
	s_mul_hi_u32 s24, s25, s27
	s_wait_alu 0xfffe
	s_add_co_u32 s2, s28, s30
	s_add_co_ci_u32 s2, s29, s23
	s_mul_i32 s26, s25, s27
	s_add_co_ci_u32 s27, s24, 0
	s_wait_alu 0xfffe
	s_add_nc_u64 s[26:27], s[2:3], s[26:27]
	s_wait_alu 0xfffe
	v_add_co_u32 v4, s2, v4, s26
	s_delay_alu instid0(VALU_DEP_1) | instskip(SKIP_1) | instid1(VALU_DEP_1)
	s_cmp_lg_u32 s2, 0
	s_add_co_ci_u32 s2, s25, s27
	v_mul_hi_u32 v13, v5, v4
	s_wait_alu 0xfffe
	v_mad_co_u64_u32 v[7:8], null, v5, s2, 0
	v_mad_co_u64_u32 v[9:10], null, v6, v4, 0
	;; [unrolled: 1-line block ×3, first 2 shown]
	s_delay_alu instid0(VALU_DEP_3) | instskip(SKIP_1) | instid1(VALU_DEP_4)
	v_add_co_u32 v4, vcc_lo, v13, v7
	s_wait_alu 0xfffd
	v_add_co_ci_u32_e32 v7, vcc_lo, 0, v8, vcc_lo
	s_delay_alu instid0(VALU_DEP_2) | instskip(SKIP_1) | instid1(VALU_DEP_2)
	v_add_co_u32 v4, vcc_lo, v4, v9
	s_wait_alu 0xfffd
	v_add_co_ci_u32_e32 v4, vcc_lo, v7, v10, vcc_lo
	s_wait_alu 0xfffd
	v_add_co_ci_u32_e32 v7, vcc_lo, 0, v12, vcc_lo
	s_delay_alu instid0(VALU_DEP_2) | instskip(SKIP_1) | instid1(VALU_DEP_2)
	v_add_co_u32 v4, vcc_lo, v4, v11
	s_wait_alu 0xfffd
	v_add_co_ci_u32_e32 v9, vcc_lo, 0, v7, vcc_lo
	s_delay_alu instid0(VALU_DEP_2) | instskip(SKIP_1) | instid1(VALU_DEP_3)
	v_mul_lo_u32 v10, s21, v4
	v_mad_co_u64_u32 v[7:8], null, s20, v4, 0
	v_mul_lo_u32 v11, s20, v9
	s_delay_alu instid0(VALU_DEP_2) | instskip(NEXT) | instid1(VALU_DEP_2)
	v_sub_co_u32 v7, vcc_lo, v5, v7
	v_add3_u32 v8, v8, v11, v10
	s_delay_alu instid0(VALU_DEP_1) | instskip(SKIP_1) | instid1(VALU_DEP_1)
	v_sub_nc_u32_e32 v10, v6, v8
	s_wait_alu 0xfffd
	v_subrev_co_ci_u32_e64 v10, s2, s21, v10, vcc_lo
	v_add_co_u32 v11, s2, v4, 2
	s_wait_alu 0xf1ff
	v_add_co_ci_u32_e64 v12, s2, 0, v9, s2
	v_sub_co_u32 v13, s2, v7, s20
	v_sub_co_ci_u32_e32 v8, vcc_lo, v6, v8, vcc_lo
	s_wait_alu 0xf1ff
	v_subrev_co_ci_u32_e64 v10, s2, 0, v10, s2
	s_delay_alu instid0(VALU_DEP_3) | instskip(NEXT) | instid1(VALU_DEP_3)
	v_cmp_le_u32_e32 vcc_lo, s20, v13
	v_cmp_eq_u32_e64 s2, s21, v8
	s_wait_alu 0xfffd
	v_cndmask_b32_e64 v13, 0, -1, vcc_lo
	v_cmp_le_u32_e32 vcc_lo, s21, v10
	s_wait_alu 0xfffd
	v_cndmask_b32_e64 v14, 0, -1, vcc_lo
	v_cmp_le_u32_e32 vcc_lo, s20, v7
	;; [unrolled: 3-line block ×3, first 2 shown]
	s_wait_alu 0xfffd
	v_cndmask_b32_e64 v15, 0, -1, vcc_lo
	v_cmp_eq_u32_e32 vcc_lo, s21, v10
	s_wait_alu 0xf1ff
	s_delay_alu instid0(VALU_DEP_2)
	v_cndmask_b32_e64 v7, v15, v7, s2
	s_wait_alu 0xfffd
	v_cndmask_b32_e32 v10, v14, v13, vcc_lo
	v_add_co_u32 v13, vcc_lo, v4, 1
	s_wait_alu 0xfffd
	v_add_co_ci_u32_e32 v14, vcc_lo, 0, v9, vcc_lo
	s_delay_alu instid0(VALU_DEP_3) | instskip(SKIP_2) | instid1(VALU_DEP_3)
	v_cmp_ne_u32_e32 vcc_lo, 0, v10
	s_wait_alu 0xfffd
	v_cndmask_b32_e32 v10, v13, v11, vcc_lo
	v_cndmask_b32_e32 v8, v14, v12, vcc_lo
	v_cmp_ne_u32_e32 vcc_lo, 0, v7
	s_wait_alu 0xfffd
	s_delay_alu instid0(VALU_DEP_2)
	v_dual_cndmask_b32 v7, v4, v10 :: v_dual_cndmask_b32 v8, v9, v8
.LBB0_4:                                ;   in Loop: Header=BB0_2 Depth=1
	s_wait_alu 0xfffe
	s_and_not1_saveexec_b32 s2, s22
	s_cbranch_execz .LBB0_6
; %bb.5:                                ;   in Loop: Header=BB0_2 Depth=1
	v_cvt_f32_u32_e32 v4, s20
	s_sub_co_i32 s22, 0, s20
	s_delay_alu instid0(VALU_DEP_1) | instskip(NEXT) | instid1(TRANS32_DEP_1)
	v_rcp_iflag_f32_e32 v4, v4
	v_mul_f32_e32 v4, 0x4f7ffffe, v4
	s_delay_alu instid0(VALU_DEP_1) | instskip(SKIP_1) | instid1(VALU_DEP_1)
	v_cvt_u32_f32_e32 v4, v4
	s_wait_alu 0xfffe
	v_mul_lo_u32 v7, s22, v4
	s_delay_alu instid0(VALU_DEP_1) | instskip(NEXT) | instid1(VALU_DEP_1)
	v_mul_hi_u32 v7, v4, v7
	v_add_nc_u32_e32 v4, v4, v7
	s_delay_alu instid0(VALU_DEP_1) | instskip(NEXT) | instid1(VALU_DEP_1)
	v_mul_hi_u32 v4, v5, v4
	v_mul_lo_u32 v7, v4, s20
	v_add_nc_u32_e32 v8, 1, v4
	s_delay_alu instid0(VALU_DEP_2) | instskip(NEXT) | instid1(VALU_DEP_1)
	v_sub_nc_u32_e32 v7, v5, v7
	v_subrev_nc_u32_e32 v9, s20, v7
	v_cmp_le_u32_e32 vcc_lo, s20, v7
	s_wait_alu 0xfffd
	s_delay_alu instid0(VALU_DEP_2) | instskip(NEXT) | instid1(VALU_DEP_1)
	v_dual_cndmask_b32 v7, v7, v9 :: v_dual_cndmask_b32 v4, v4, v8
	v_cmp_le_u32_e32 vcc_lo, s20, v7
	s_delay_alu instid0(VALU_DEP_2) | instskip(SKIP_1) | instid1(VALU_DEP_1)
	v_add_nc_u32_e32 v8, 1, v4
	s_wait_alu 0xfffd
	v_dual_cndmask_b32 v7, v4, v8 :: v_dual_mov_b32 v8, v3
.LBB0_6:                                ;   in Loop: Header=BB0_2 Depth=1
	s_wait_alu 0xfffe
	s_or_b32 exec_lo, exec_lo, s2
	s_load_b64 s[22:23], s[14:15], 0x0
	s_delay_alu instid0(VALU_DEP_1)
	v_mul_lo_u32 v4, v8, s20
	v_mul_lo_u32 v11, v7, s21
	v_mad_co_u64_u32 v[9:10], null, v7, s20, 0
	s_add_nc_u64 s[16:17], s[16:17], 1
	s_add_nc_u64 s[14:15], s[14:15], 8
	s_wait_alu 0xfffe
	v_cmp_ge_u64_e64 s2, s[16:17], s[6:7]
	s_add_nc_u64 s[18:19], s[18:19], 8
	s_delay_alu instid0(VALU_DEP_2) | instskip(NEXT) | instid1(VALU_DEP_3)
	v_add3_u32 v4, v10, v11, v4
	v_sub_co_u32 v5, vcc_lo, v5, v9
	s_wait_alu 0xfffd
	s_delay_alu instid0(VALU_DEP_2) | instskip(SKIP_3) | instid1(VALU_DEP_2)
	v_sub_co_ci_u32_e32 v4, vcc_lo, v6, v4, vcc_lo
	s_and_b32 vcc_lo, exec_lo, s2
	s_wait_kmcnt 0x0
	v_mul_lo_u32 v6, s23, v5
	v_mul_lo_u32 v4, s22, v4
	v_mad_co_u64_u32 v[1:2], null, s22, v5, v[1:2]
	s_delay_alu instid0(VALU_DEP_1)
	v_add3_u32 v2, v6, v2, v4
	s_wait_alu 0xfffe
	s_cbranch_vccnz .LBB0_9
; %bb.7:                                ;   in Loop: Header=BB0_2 Depth=1
	v_dual_mov_b32 v5, v7 :: v_dual_mov_b32 v6, v8
	s_branch .LBB0_2
.LBB0_8:
	v_dual_mov_b32 v8, v6 :: v_dual_mov_b32 v7, v5
.LBB0_9:
	s_lshl_b64 s[2:3], s[6:7], 3
	v_mul_hi_u32 v3, 0x295fad5, v0
	s_wait_alu 0xfffe
	s_add_nc_u64 s[2:3], s[12:13], s[2:3]
                                        ; implicit-def: $vgpr10_vgpr11
                                        ; implicit-def: $vgpr14_vgpr15
                                        ; implicit-def: $vgpr18_vgpr19
                                        ; implicit-def: $vgpr22_vgpr23
                                        ; implicit-def: $vgpr26_vgpr27
                                        ; implicit-def: $vgpr34_vgpr35
                                        ; implicit-def: $vgpr46_vgpr47
                                        ; implicit-def: $vgpr38_vgpr39
                                        ; implicit-def: $vgpr42_vgpr43
                                        ; implicit-def: $vgpr30_vgpr31
	s_load_b64 s[2:3], s[2:3], 0x0
	s_load_b64 s[0:1], s[0:1], 0x20
	s_delay_alu instid0(VALU_DEP_1) | instskip(NEXT) | instid1(VALU_DEP_1)
	v_mul_u32_u24_e32 v3, 0x63, v3
	v_sub_nc_u32_e32 v90, v0, v3
	s_wait_kmcnt 0x0
	v_mul_lo_u32 v4, s2, v8
	v_mul_lo_u32 v5, s3, v7
	v_mad_co_u64_u32 v[1:2], null, s2, v7, v[1:2]
	v_cmp_gt_u64_e32 vcc_lo, s[0:1], v[7:8]
	v_cmp_gt_u32_e64 s0, 63, v90
                                        ; implicit-def: $vgpr6_vgpr7
	s_delay_alu instid0(VALU_DEP_1) | instskip(NEXT) | instid1(VALU_DEP_3)
	s_and_b32 s1, vcc_lo, s0
	v_add3_u32 v2, v5, v2, v4
	s_delay_alu instid0(VALU_DEP_1)
	v_lshlrev_b64_e32 v[60:61], 4, v[1:2]
	s_wait_alu 0xfffe
	s_and_saveexec_b32 s2, s1
	s_cbranch_execz .LBB0_11
; %bb.10:
	v_add_nc_u32_e32 v6, 63, v90
	v_mad_co_u64_u32 v[0:1], null, s8, v90, 0
	v_add_nc_u32_e32 v7, 0x7e, v90
	v_add_co_u32 v21, s1, s10, v60
	s_delay_alu instid0(VALU_DEP_4) | instskip(NEXT) | instid1(VALU_DEP_3)
	v_mad_co_u64_u32 v[2:3], null, s8, v6, 0
	v_mad_co_u64_u32 v[8:9], null, s8, v7, 0
	s_wait_alu 0xf1ff
	v_add_co_ci_u32_e64 v22, s1, s11, v61, s1
	v_add_nc_u32_e32 v17, 0xfc, v90
	v_add_nc_u32_e32 v23, 0x237, v90
	v_mad_co_u64_u32 v[4:5], null, s9, v90, v[1:2]
	v_add_nc_u32_e32 v18, 0x13b, v90
	s_delay_alu instid0(VALU_DEP_4) | instskip(SKIP_1) | instid1(VALU_DEP_4)
	v_mad_co_u64_u32 v[12:13], null, s8, v17, 0
	v_add_nc_u32_e32 v20, 0x1f8, v90
	v_dual_mov_b32 v1, v4 :: v_dual_add_nc_u32 v24, 0x276, v90
	v_mad_co_u64_u32 v[5:6], null, s9, v6, v[3:4]
	v_add_nc_u32_e32 v14, 0xbd, v90
	v_mov_b32_e32 v4, v9
	s_delay_alu instid0(VALU_DEP_4) | instskip(NEXT) | instid1(VALU_DEP_4)
	v_lshlrev_b64_e32 v[0:1], 4, v[0:1]
	v_mov_b32_e32 v3, v5
	s_delay_alu instid0(VALU_DEP_4) | instskip(NEXT) | instid1(VALU_DEP_3)
	v_mad_co_u64_u32 v[10:11], null, s8, v14, 0
	v_add_co_u32 v0, s1, v21, v0
	s_delay_alu instid0(VALU_DEP_3) | instskip(SKIP_2) | instid1(VALU_DEP_4)
	v_lshlrev_b64_e32 v[2:3], 4, v[2:3]
	s_wait_alu 0xf1ff
	v_add_co_ci_u32_e64 v1, s1, v22, v1, s1
	v_mov_b32_e32 v5, v11
	v_mov_b32_e32 v11, v13
	s_delay_alu instid0(VALU_DEP_4) | instskip(SKIP_3) | instid1(VALU_DEP_1)
	v_add_co_u32 v2, s1, v21, v2
	s_wait_alu 0xf1ff
	v_add_co_ci_u32_e64 v3, s1, v22, v3, s1
	v_mad_co_u64_u32 v[6:7], null, s9, v7, v[4:5]
	v_mov_b32_e32 v9, v6
	v_mad_co_u64_u32 v[14:15], null, s9, v14, v[5:6]
	s_clause 0x1
	global_load_b128 v[4:7], v[0:1], off
	global_load_b128 v[28:31], v[2:3], off
	v_mad_co_u64_u32 v[15:16], null, s8, v18, 0
	v_mad_co_u64_u32 v[2:3], null, s9, v17, v[11:12]
	v_lshlrev_b64_e32 v[0:1], 4, v[8:9]
	v_mov_b32_e32 v11, v14
	s_delay_alu instid0(VALU_DEP_4) | instskip(NEXT) | instid1(VALU_DEP_4)
	v_mov_b32_e32 v3, v16
	v_mov_b32_e32 v13, v2
	s_delay_alu instid0(VALU_DEP_3) | instskip(SKIP_4) | instid1(VALU_DEP_4)
	v_lshlrev_b64_e32 v[8:9], 4, v[10:11]
	v_add_co_u32 v0, s1, v21, v0
	s_wait_alu 0xf1ff
	v_add_co_ci_u32_e64 v1, s1, v22, v1, s1
	v_lshlrev_b64_e32 v[10:11], 4, v[12:13]
	v_add_co_u32 v8, s1, v21, v8
	s_wait_alu 0xf1ff
	v_add_co_ci_u32_e64 v9, s1, v22, v9, s1
	s_clause 0x1
	global_load_b128 v[40:43], v[0:1], off
	global_load_b128 v[36:39], v[8:9], off
	v_add_co_u32 v0, s1, v21, v10
	s_wait_alu 0xf1ff
	v_add_co_ci_u32_e64 v1, s1, v22, v11, s1
	s_wait_loadcnt 0x3
	v_mad_co_u64_u32 v[2:3], null, s9, v18, v[3:4]
	v_add_nc_u32_e32 v18, 0x1b9, v90
	s_delay_alu instid0(VALU_DEP_1) | instskip(NEXT) | instid1(VALU_DEP_3)
	v_mad_co_u64_u32 v[10:11], null, s8, v18, 0
	v_mov_b32_e32 v16, v2
	s_delay_alu instid0(VALU_DEP_1) | instskip(SKIP_3) | instid1(VALU_DEP_4)
	v_lshlrev_b64_e32 v[8:9], 4, v[15:16]
	v_mad_co_u64_u32 v[16:17], null, s8, v23, 0
	v_add_nc_u32_e32 v3, 0x17a, v90
	v_mad_co_u64_u32 v[14:15], null, s8, v20, 0
	v_add_co_u32 v8, s1, v21, v8
	s_wait_alu 0xf1ff
	v_add_co_ci_u32_e64 v9, s1, v22, v9, s1
	s_clause 0x1
	global_load_b128 v[44:47], v[0:1], off
	global_load_b128 v[32:35], v[8:9], off
	v_mov_b32_e32 v0, v17
	v_mad_co_u64_u32 v[12:13], null, s8, v3, 0
	s_delay_alu instid0(VALU_DEP_2) | instskip(NEXT) | instid1(VALU_DEP_1)
	v_mad_co_u64_u32 v[0:1], null, s9, v23, v[0:1]
	v_dual_mov_b32 v2, v13 :: v_dual_mov_b32 v17, v0
	s_delay_alu instid0(VALU_DEP_1) | instskip(SKIP_1) | instid1(VALU_DEP_2)
	v_mad_co_u64_u32 v[2:3], null, s9, v3, v[2:3]
	v_mov_b32_e32 v3, v15
	v_dual_mov_b32 v13, v2 :: v_dual_mov_b32 v2, v11
	s_delay_alu instid0(VALU_DEP_1) | instskip(NEXT) | instid1(VALU_DEP_2)
	v_lshlrev_b64_e32 v[8:9], 4, v[12:13]
	v_mad_co_u64_u32 v[18:19], null, s9, v18, v[2:3]
	v_mad_co_u64_u32 v[2:3], null, s9, v20, v[3:4]
	;; [unrolled: 1-line block ×3, first 2 shown]
	s_delay_alu instid0(VALU_DEP_3) | instskip(NEXT) | instid1(VALU_DEP_3)
	v_mov_b32_e32 v11, v18
	v_mov_b32_e32 v15, v2
	v_add_co_u32 v2, s1, v21, v8
	s_delay_alu instid0(VALU_DEP_4) | instskip(SKIP_3) | instid1(VALU_DEP_3)
	v_mov_b32_e32 v1, v20
	s_wait_alu 0xf1ff
	v_add_co_ci_u32_e64 v3, s1, v22, v9, s1
	v_lshlrev_b64_e32 v[8:9], 4, v[10:11]
	v_mad_co_u64_u32 v[10:11], null, s9, v24, v[1:2]
	v_lshlrev_b64_e32 v[11:12], 4, v[14:15]
	s_delay_alu instid0(VALU_DEP_3) | instskip(SKIP_1) | instid1(VALU_DEP_4)
	v_add_co_u32 v0, s1, v21, v8
	s_wait_alu 0xf1ff
	v_add_co_ci_u32_e64 v1, s1, v22, v9, s1
	s_delay_alu instid0(VALU_DEP_4)
	v_mov_b32_e32 v20, v10
	v_lshlrev_b64_e32 v[8:9], 4, v[16:17]
	v_add_co_u32 v10, s1, v21, v11
	s_wait_alu 0xf1ff
	v_add_co_ci_u32_e64 v11, s1, v22, v12, s1
	v_lshlrev_b64_e32 v[12:13], 4, v[19:20]
	s_delay_alu instid0(VALU_DEP_4) | instskip(SKIP_2) | instid1(VALU_DEP_3)
	v_add_co_u32 v8, s1, v21, v8
	s_wait_alu 0xf1ff
	v_add_co_ci_u32_e64 v9, s1, v22, v9, s1
	v_add_co_u32 v48, s1, v21, v12
	s_wait_alu 0xf1ff
	v_add_co_ci_u32_e64 v49, s1, v22, v13, s1
	s_clause 0x4
	global_load_b128 v[24:27], v[2:3], off
	global_load_b128 v[20:23], v[0:1], off
	;; [unrolled: 1-line block ×5, first 2 shown]
.LBB0_11:
	s_wait_alu 0xfffe
	s_or_b32 exec_lo, exec_lo, s2
	s_wait_loadcnt 0x0
	v_add_f64_e32 v[54:55], v[8:9], v[28:29]
	s_mov_b32 s14, 0x640f44db
	s_mov_b32 s2, 0x7f775887
	;; [unrolled: 1-line block ×4, first 2 shown]
	v_add_f64_e64 v[58:59], v[30:31], -v[10:11]
	v_add_f64_e32 v[56:57], v[12:13], v[40:41]
	s_mov_b32 s20, 0x43842ef
	s_mov_b32 s12, 0x9bcd5057
	;; [unrolled: 1-line block ×6, first 2 shown]
	v_add_f64_e32 v[50:51], v[16:17], v[36:37]
	v_add_f64_e64 v[86:87], v[42:43], -v[14:15]
	s_mov_b32 s24, 0xfd768dbf
	s_mov_b32 s6, 0xd9c712b6
	;; [unrolled: 1-line block ×7, first 2 shown]
	s_wait_alu 0xfffe
	s_mov_b32 s26, s20
	v_add_f64_e64 v[88:89], v[38:39], -v[18:19]
	v_add_f64_e32 v[48:49], v[20:21], v[44:45]
	s_mov_b32 s22, 0x8eee2c13
	s_mov_b32 s28, 0xf8bb580b
	;; [unrolled: 1-line block ×4, first 2 shown]
	v_add_f64_e64 v[80:81], v[46:47], -v[22:23]
	s_mov_b32 s31, 0xbfd207e7
	s_mov_b32 s30, s24
	v_add_f64_e64 v[72:73], v[34:35], -v[26:27]
	v_mul_f64_e32 v[68:69], s[14:15], v[54:55]
	v_mul_f64_e32 v[82:83], s[2:3], v[54:55]
	;; [unrolled: 1-line block ×8, first 2 shown]
	v_fma_f64 v[0:1], v[58:59], s[20:21], v[68:69]
	v_fma_f64 v[2:3], v[58:59], s[18:19], v[82:83]
	;; [unrolled: 1-line block ×3, first 2 shown]
	s_wait_alu 0xfffe
	v_fma_f64 v[62:63], v[86:87], s[26:27], v[84:85]
	v_fma_f64 v[91:92], v[88:89], s[22:23], v[74:75]
	;; [unrolled: 1-line block ×4, first 2 shown]
	v_add_f64_e32 v[64:65], v[4:5], v[0:1]
	v_add_f64_e32 v[2:3], v[4:5], v[2:3]
	;; [unrolled: 1-line block ×3, first 2 shown]
	s_delay_alu instid0(VALU_DEP_3) | instskip(NEXT) | instid1(VALU_DEP_3)
	v_add_f64_e32 v[95:96], v[52:53], v[64:65]
	v_add_f64_e32 v[2:3], v[62:63], v[2:3]
	s_delay_alu instid0(VALU_DEP_3)
	v_mul_f64_e32 v[52:53], s[2:3], v[0:1]
	v_mul_f64_e32 v[64:65], s[6:7], v[0:1]
	v_fma_f64 v[62:63], v[80:81], s[28:29], v[66:67]
	v_add_f64_e32 v[91:92], v[91:92], v[95:96]
	v_add_f64_e32 v[2:3], v[93:94], v[2:3]
	v_fma_f64 v[93:94], v[72:73], s[18:19], v[52:53]
	v_fma_f64 v[95:96], v[72:73], s[22:23], v[64:65]
	s_delay_alu instid0(VALU_DEP_4) | instskip(NEXT) | instid1(VALU_DEP_4)
	v_add_f64_e32 v[62:63], v[62:63], v[91:92]
	v_add_f64_e32 v[2:3], v[97:98], v[2:3]
	s_delay_alu instid0(VALU_DEP_2) | instskip(NEXT) | instid1(VALU_DEP_2)
	v_add_f64_e32 v[62:63], v[93:94], v[62:63]
	v_add_f64_e32 v[2:3], v[95:96], v[2:3]
	s_and_saveexec_b32 s1, s0
	s_cbranch_execz .LBB0_13
; %bb.12:
	v_add_f64_e32 v[91:92], v[28:29], v[4:5]
	v_mul_f64_e32 v[93:94], s[30:31], v[58:59]
	v_mul_f64_e32 v[95:96], s[18:19], v[58:59]
	s_mov_b32 s37, 0xbfed1bb4
	s_mov_b32 s36, s22
	v_mul_f64_e32 v[97:98], s[20:21], v[58:59]
	v_mul_f64_e32 v[99:100], s[28:29], v[58:59]
	;; [unrolled: 1-line block ×3, first 2 shown]
	s_mov_b32 s35, 0x3fe14ced
	s_mov_b32 s34, s28
	v_mul_f64_e32 v[101:102], s[26:27], v[86:87]
	v_mul_f64_e32 v[103:104], s[24:25], v[86:87]
	;; [unrolled: 1-line block ×10, first 2 shown]
	v_add_f64_e32 v[91:92], v[40:41], v[91:92]
	v_fma_f64 v[109:110], v[54:55], s[12:13], v[93:94]
	v_fma_f64 v[93:94], v[54:55], s[12:13], -v[93:94]
	v_add_f64_e64 v[82:83], v[82:83], -v[95:96]
	v_add_f64_e64 v[68:69], v[68:69], -v[97:98]
	v_fma_f64 v[95:96], v[54:55], s[16:17], -v[99:100]
	v_fma_f64 v[97:98], v[54:55], s[6:7], -v[58:59]
	v_fma_f64 v[58:59], v[54:55], s[6:7], v[58:59]
	v_fma_f64 v[54:55], v[54:55], s[16:17], v[99:100]
	v_mul_f64_e32 v[99:100], s[28:29], v[88:89]
	v_mul_f64_e32 v[88:89], s[20:21], v[88:89]
	v_add_f64_e64 v[84:85], v[84:85], -v[101:102]
	v_add_f64_e64 v[78:79], v[78:79], -v[103:104]
	v_fma_f64 v[101:102], v[56:57], s[2:3], v[105:106]
	v_fma_f64 v[103:104], v[56:57], s[2:3], -v[105:106]
	v_fma_f64 v[105:106], v[56:57], s[16:17], v[107:108]
	v_fma_f64 v[107:108], v[56:57], s[16:17], -v[107:108]
	;; [unrolled: 2-line block ×3, first 2 shown]
	v_add_f64_e64 v[74:75], v[74:75], -v[113:114]
	v_fma_f64 v[113:114], v[50:51], s[12:13], v[115:116]
	v_fma_f64 v[115:116], v[50:51], s[12:13], -v[115:116]
	v_add_f64_e64 v[70:71], v[70:71], -v[119:120]
	v_add_f64_e32 v[91:92], v[36:37], v[91:92]
	v_add_f64_e32 v[86:87], v[4:5], v[109:110]
	;; [unrolled: 1-line block ×4, first 2 shown]
	v_mul_f64_e32 v[109:110], s[22:23], v[80:81]
	v_add_f64_e32 v[68:69], v[4:5], v[68:69]
	v_add_f64_e32 v[95:96], v[4:5], v[95:96]
	v_add_f64_e32 v[97:98], v[4:5], v[97:98]
	v_add_f64_e32 v[58:59], v[4:5], v[58:59]
	v_add_f64_e32 v[4:5], v[4:5], v[54:55]
	v_mul_f64_e32 v[54:55], s[28:29], v[80:81]
	v_mul_f64_e32 v[80:81], s[18:19], v[80:81]
	v_add_f64_e64 v[76:77], v[76:77], -v[99:100]
	v_fma_f64 v[99:100], v[50:51], s[2:3], v[111:112]
	v_fma_f64 v[111:112], v[50:51], s[2:3], -v[111:112]
	v_fma_f64 v[123:124], v[50:51], s[14:15], v[88:89]
	v_fma_f64 v[50:51], v[50:51], s[14:15], -v[88:89]
	v_add_f64_e32 v[91:92], v[44:45], v[91:92]
	v_add_f64_e32 v[86:87], v[105:106], v[86:87]
	;; [unrolled: 1-line block ×4, first 2 shown]
	v_mul_f64_e32 v[93:94], s[20:21], v[72:73]
	v_add_f64_e32 v[68:69], v[78:79], v[68:69]
	v_add_f64_e32 v[56:57], v[56:57], v[95:96]
	;; [unrolled: 1-line block ×5, first 2 shown]
	v_mul_f64_e32 v[95:96], s[22:23], v[72:73]
	v_mul_f64_e32 v[97:98], s[30:31], v[72:73]
	v_fma_f64 v[101:102], v[48:49], s[6:7], v[109:110]
	v_fma_f64 v[103:104], v[48:49], s[6:7], -v[109:110]
	v_add_f64_e64 v[54:55], v[66:67], -v[54:55]
	v_fma_f64 v[66:67], v[48:49], s[14:15], v[121:122]
	v_fma_f64 v[105:106], v[48:49], s[14:15], -v[121:122]
	v_fma_f64 v[107:108], v[48:49], s[2:3], v[80:81]
	v_fma_f64 v[48:49], v[48:49], s[2:3], -v[80:81]
	v_add_f64_e32 v[91:92], v[32:33], v[91:92]
	v_add_f64_e32 v[80:81], v[99:100], v[86:87]
	;; [unrolled: 1-line block ×4, first 2 shown]
	v_fma_f64 v[82:83], v[0:1], s[14:15], -v[93:94]
	v_add_f64_e32 v[68:69], v[74:75], v[68:69]
	v_add_f64_e32 v[50:51], v[50:51], v[56:57]
	;; [unrolled: 1-line block ×5, first 2 shown]
	v_add_f64_e64 v[64:65], v[64:65], -v[95:96]
	v_fma_f64 v[84:85], v[0:1], s[12:13], v[97:98]
	v_fma_f64 v[88:89], v[0:1], s[12:13], -v[97:98]
	v_add_f64_e32 v[91:92], v[24:25], v[91:92]
	v_add_f64_e32 v[70:71], v[70:71], v[76:77]
	;; [unrolled: 1-line block ×7, first 2 shown]
	v_mul_f64_e32 v[91:92], s[18:19], v[72:73]
	v_mul_f64_e32 v[72:73], s[34:35], v[72:73]
	v_add_f64_e32 v[64:65], v[64:65], v[70:71]
	v_add_f64_e32 v[48:49], v[88:89], v[48:49]
	;; [unrolled: 1-line block ×4, first 2 shown]
	v_fma_f64 v[78:79], v[0:1], s[14:15], v[93:94]
	v_add_f64_e64 v[52:53], v[52:53], -v[91:92]
	v_fma_f64 v[91:92], v[0:1], s[16:17], v[72:73]
	v_fma_f64 v[0:1], v[0:1], s[16:17], -v[72:73]
	v_add_f64_e32 v[72:73], v[101:102], v[80:81]
	v_add_f64_e32 v[80:81], v[103:104], v[86:87]
	v_add_f64_e32 v[50:51], v[12:13], v[56:57]
	v_add_f64_e32 v[56:57], v[105:106], v[74:75]
	v_add_f64_e32 v[52:53], v[52:53], v[54:55]
	v_add_f64_e32 v[54:55], v[91:92], v[58:59]
	v_add_f64_e32 v[66:67], v[78:79], v[72:73]
	v_add_f64_e32 v[68:69], v[82:83], v[80:81]
	v_add_f64_e32 v[50:51], v[8:9], v[50:51]
	v_add_f64_e32 v[0:1], v[0:1], v[56:57]
	v_mad_u32_u24 v56, 0x58, v90, 0
	ds_store_2addr_b64 v56, v[64:65], v[68:69] offset0:4 offset1:5
	ds_store_2addr_b64 v56, v[66:67], v[2:3] offset0:6 offset1:7
	ds_store_2addr_b64 v56, v[50:51], v[48:49] offset1:1
	ds_store_2addr_b64 v56, v[0:1], v[52:53] offset0:2 offset1:3
	ds_store_2addr_b64 v56, v[62:63], v[54:55] offset0:8 offset1:9
	ds_store_b64 v56, v[4:5] offset:80
.LBB0_13:
	s_wait_alu 0xfffe
	s_or_b32 exec_lo, exec_lo, s1
	v_add_f64_e64 v[84:85], v[28:29], -v[8:9]
	v_add_f64_e64 v[82:83], v[40:41], -v[12:13]
	v_add_f64_e32 v[76:77], v[10:11], v[30:31]
	v_add_f64_e64 v[70:71], v[36:37], -v[16:17]
	v_add_f64_e32 v[68:69], v[14:15], v[42:43]
	v_add_f64_e32 v[40:41], v[18:19], v[38:39]
	v_add_f64_e64 v[66:67], v[44:45], -v[20:21]
	v_add_f64_e32 v[12:13], v[22:23], v[46:47]
	v_add_f64_e64 v[32:33], v[32:33], -v[24:25]
	v_lshl_add_u32 v86, v90, 3, 0
	global_wb scope:SCOPE_SE
	s_wait_dscnt 0x0
	s_barrier_signal -1
	s_barrier_wait -1
	global_inv scope:SCOPE_SE
	v_add_nc_u32_e32 v87, 0x400, v86
	v_add_nc_u32_e32 v88, 0x800, v86
	v_mul_f64_e32 v[78:79], s[20:21], v[84:85]
	v_mul_f64_e32 v[80:81], s[18:19], v[84:85]
	;; [unrolled: 1-line block ×9, first 2 shown]
	v_fma_f64 v[0:1], v[76:77], s[14:15], -v[78:79]
	v_fma_f64 v[4:5], v[76:77], s[2:3], -v[80:81]
	;; [unrolled: 1-line block ×8, first 2 shown]
	v_add_f64_e32 v[0:1], v[6:7], v[0:1]
	v_add_f64_e32 v[4:5], v[6:7], v[4:5]
	s_delay_alu instid0(VALU_DEP_2) | instskip(NEXT) | instid1(VALU_DEP_2)
	v_add_f64_e32 v[0:1], v[8:9], v[0:1]
	v_add_f64_e32 v[8:9], v[16:17], v[4:5]
	;; [unrolled: 1-line block ×3, first 2 shown]
	v_mul_f64_e32 v[16:17], s[18:19], v[32:33]
	s_delay_alu instid0(VALU_DEP_4) | instskip(NEXT) | instid1(VALU_DEP_4)
	v_add_f64_e32 v[0:1], v[36:37], v[0:1]
	v_add_f64_e32 v[8:9], v[48:49], v[8:9]
	s_delay_alu instid0(VALU_DEP_4) | instskip(NEXT) | instid1(VALU_DEP_4)
	v_fma_f64 v[48:49], v[4:5], s[6:7], -v[20:21]
	v_fma_f64 v[36:37], v[4:5], s[2:3], -v[16:17]
	s_delay_alu instid0(VALU_DEP_4) | instskip(NEXT) | instid1(VALU_DEP_4)
	v_add_f64_e32 v[0:1], v[50:51], v[0:1]
	v_add_f64_e32 v[8:9], v[52:53], v[8:9]
	s_delay_alu instid0(VALU_DEP_2) | instskip(NEXT) | instid1(VALU_DEP_2)
	v_add_f64_e32 v[36:37], v[36:37], v[0:1]
	v_add_f64_e32 v[8:9], v[48:49], v[8:9]
	ds_load_2addr_b64 v[48:51], v86 offset1:99
	ds_load_2addr_b64 v[56:59], v87 offset0:70 offset1:169
	ds_load_2addr_b64 v[52:55], v88 offset0:140 offset1:239
	ds_load_b64 v[0:1], v86 offset:4752
	global_wb scope:SCOPE_SE
	s_wait_dscnt 0x0
	s_barrier_signal -1
	s_barrier_wait -1
	global_inv scope:SCOPE_SE
	s_and_saveexec_b32 s30, s0
	s_cbranch_execz .LBB0_15
; %bb.14:
	v_add_f64_e32 v[30:31], v[30:31], v[6:7]
	s_mov_b32 s20, 0xfd768dbf
	s_mov_b32 s21, 0xbfd207e7
	s_mov_b32 s1, 0xbfe14ced
	s_mov_b32 s0, 0xf8bb580b
	s_wait_alu 0xfffe
	v_mul_f64_e32 v[93:94], s[20:21], v[84:85]
	s_mov_b32 s23, 0xbfed1bb4
	s_mov_b32 s22, 0x8eee2c13
	v_mul_f64_e32 v[91:92], s[0:1], v[84:85]
	s_mov_b32 s34, 0xbb3a28a1
	s_mov_b32 s24, 0x9bcd5057
	;; [unrolled: 1-line block ×5, first 2 shown]
	v_mul_f64_e32 v[95:96], s[14:15], v[68:69]
	s_mov_b32 s18, 0xd9c712b6
	s_wait_alu 0xfffe
	v_mul_f64_e32 v[97:98], s[22:23], v[82:83]
	v_mul_f64_e32 v[99:100], s[34:35], v[82:83]
	;; [unrolled: 1-line block ×3, first 2 shown]
	s_mov_b32 s19, 0x3fda9628
	s_mov_b32 s28, 0x43842ef
	;; [unrolled: 1-line block ×5, first 2 shown]
	v_mul_f64_e32 v[101:102], s[16:17], v[40:41]
	s_mov_b32 s37, 0x3fd207e7
	s_wait_alu 0xfffe
	v_mul_f64_e32 v[103:104], s[28:29], v[70:71]
	s_mov_b32 s36, s20
	v_mul_f64_e32 v[105:106], s[34:35], v[70:71]
	s_wait_alu 0xfffe
	v_mul_f64_e32 v[70:71], s[36:37], v[70:71]
	v_add_f64_e32 v[30:31], v[42:43], v[30:31]
	v_mul_f64_e32 v[42:43], s[2:3], v[76:77]
	v_add_f64_e32 v[74:75], v[95:96], v[74:75]
	v_fma_f64 v[95:96], v[68:69], s[18:19], -v[97:98]
	v_add_f64_e32 v[64:65], v[101:102], v[64:65]
	v_fma_f64 v[111:112], v[40:41], s[24:25], v[70:71]
	v_add_f64_e32 v[30:31], v[38:39], v[30:31]
	v_mul_f64_e32 v[38:39], s[14:15], v[76:77]
	s_mov_b32 s14, 0x8764f0ba
	s_mov_b32 s15, 0x3feaeb8c
	v_add_f64_e32 v[42:43], v[42:43], v[80:81]
	v_fma_f64 v[80:81], v[76:77], s[24:25], v[93:94]
	v_fma_f64 v[93:94], v[76:77], s[24:25], -v[93:94]
	s_wait_alu 0xfffe
	v_fma_f64 v[107:108], v[68:69], s[14:15], v[82:83]
	v_add_f64_e32 v[30:31], v[46:47], v[30:31]
	v_mul_f64_e32 v[46:47], s[22:23], v[84:85]
	v_mul_f64_e32 v[84:85], s[12:13], v[68:69]
	v_add_f64_e32 v[38:39], v[38:39], v[78:79]
	v_fma_f64 v[78:79], v[76:77], s[14:15], v[91:92]
	v_add_f64_e32 v[42:43], v[6:7], v[42:43]
	v_add_f64_e32 v[80:81], v[6:7], v[80:81]
	s_mov_b32 s23, 0x3fed1bb4
	v_add_f64_e32 v[30:31], v[34:35], v[30:31]
	v_fma_f64 v[34:35], v[76:77], s[18:19], v[46:47]
	v_fma_f64 v[46:47], v[76:77], s[18:19], -v[46:47]
	v_fma_f64 v[76:77], v[76:77], s[14:15], -v[91:92]
	v_mul_f64_e32 v[91:92], s[6:7], v[40:41]
	v_add_f64_e32 v[72:73], v[84:85], v[72:73]
	v_add_f64_e32 v[38:39], v[6:7], v[38:39]
	v_fma_f64 v[84:85], v[68:69], s[18:19], v[97:98]
	v_fma_f64 v[97:98], v[68:69], s[26:27], v[99:100]
	v_fma_f64 v[99:100], v[68:69], s[26:27], -v[99:100]
	v_fma_f64 v[68:69], v[68:69], s[14:15], -v[82:83]
	v_add_f64_e32 v[82:83], v[6:7], v[93:94]
	v_add_f64_e32 v[78:79], v[6:7], v[78:79]
	v_mul_f64_e32 v[93:94], s[34:35], v[66:67]
	v_add_f64_e32 v[42:43], v[74:75], v[42:43]
	v_mul_f64_e32 v[74:75], s[6:7], v[4:5]
	v_add_f64_e32 v[26:27], v[26:27], v[30:31]
	v_add_f64_e32 v[30:31], v[6:7], v[34:35]
	;; [unrolled: 1-line block ×4, first 2 shown]
	v_mul_f64_e32 v[76:77], s[12:13], v[12:13]
	s_mov_b32 s12, 0x640f44db
	v_mul_f64_e32 v[46:47], s[16:17], v[12:13]
	s_mov_b32 s13, 0xbfc2375f
	s_mov_b32 s17, 0x3fefac9e
	;; [unrolled: 1-line block ×3, first 2 shown]
	v_add_f64_e32 v[44:45], v[91:92], v[44:45]
	s_wait_alu 0xfffe
	v_mul_f64_e32 v[109:110], s[16:17], v[66:67]
	v_mul_f64_e32 v[66:67], s[22:23], v[66:67]
	v_fma_f64 v[91:92], v[40:41], s[12:13], v[103:104]
	v_fma_f64 v[101:102], v[40:41], s[12:13], -v[103:104]
	v_fma_f64 v[103:104], v[40:41], s[26:27], v[105:106]
	v_add_f64_e32 v[38:39], v[72:73], v[38:39]
	v_add_f64_e32 v[72:73], v[107:108], v[80:81]
	v_fma_f64 v[105:106], v[40:41], s[26:27], -v[105:106]
	v_add_f64_e32 v[68:69], v[68:69], v[82:83]
	v_fma_f64 v[40:41], v[40:41], s[24:25], -v[70:71]
	v_add_f64_e32 v[70:71], v[84:85], v[78:79]
	v_mul_f64_e32 v[80:81], s[28:29], v[32:33]
	v_add_f64_e32 v[42:43], v[64:65], v[42:43]
	v_mul_f64_e32 v[78:79], s[20:21], v[32:33]
	v_mul_f64_e32 v[32:33], s[0:1], v[32:33]
	v_add_f64_e32 v[20:21], v[74:75], v[20:21]
	v_add_f64_e32 v[22:23], v[22:23], v[26:27]
	;; [unrolled: 1-line block ×6, first 2 shown]
	v_fma_f64 v[76:77], v[12:13], s[26:27], -v[93:94]
	v_add_f64_e32 v[24:25], v[46:47], v[24:25]
	v_fma_f64 v[46:47], v[12:13], s[26:27], v[93:94]
	v_mul_f64_e32 v[34:35], s[2:3], v[4:5]
	v_fma_f64 v[82:83], v[12:13], s[12:13], v[109:110]
	v_fma_f64 v[93:94], v[12:13], s[18:19], v[66:67]
	v_fma_f64 v[84:85], v[12:13], s[12:13], -v[109:110]
	v_fma_f64 v[12:13], v[12:13], s[18:19], -v[66:67]
	v_add_f64_e32 v[38:39], v[44:45], v[38:39]
	v_add_f64_e32 v[64:65], v[103:104], v[72:73]
	;; [unrolled: 1-line block ×4, first 2 shown]
	v_fma_f64 v[68:69], v[4:5], s[12:13], -v[80:81]
	v_fma_f64 v[70:71], v[4:5], s[14:15], v[32:33]
	v_add_f64_e32 v[18:19], v[18:19], v[22:23]
	v_add_f64_e32 v[22:23], v[111:112], v[26:27]
	;; [unrolled: 1-line block ×4, first 2 shown]
	v_fma_f64 v[40:41], v[4:5], s[12:13], v[80:81]
	v_add_f64_e32 v[28:29], v[28:29], v[42:43]
	v_fma_f64 v[30:31], v[4:5], s[24:25], v[78:79]
	v_add_f64_e32 v[16:17], v[34:35], v[16:17]
	v_fma_f64 v[34:35], v[4:5], s[24:25], -v[78:79]
	v_fma_f64 v[4:5], v[4:5], s[14:15], -v[32:33]
	v_add_f64_e32 v[24:25], v[24:25], v[38:39]
	v_add_f64_e32 v[38:39], v[93:94], v[64:65]
	;; [unrolled: 1-line block ×17, first 2 shown]
	v_mad_u32_u24 v18, 0x50, v90, v86
	ds_store_2addr_b64 v18, v[20:21], v[26:27] offset0:4 offset1:5
	ds_store_2addr_b64 v18, v[12:13], v[8:9] offset0:6 offset1:7
	ds_store_2addr_b64 v18, v[10:11], v[24:25] offset1:1
	ds_store_2addr_b64 v18, v[14:15], v[16:17] offset0:2 offset1:3
	ds_store_2addr_b64 v18, v[36:37], v[4:5] offset0:8 offset1:9
	ds_store_b64 v18, v[6:7] offset:80
.LBB0_15:
	s_wait_alu 0xfffe
	s_or_b32 exec_lo, exec_lo, s30
	v_and_b32_e32 v4, 0xff, v90
	global_wb scope:SCOPE_SE
	s_wait_dscnt 0x0
	s_barrier_signal -1
	s_barrier_wait -1
	global_inv scope:SCOPE_SE
	v_mul_lo_u16 v4, 0x75, v4
	s_mov_b32 s2, 0x37e14327
	s_mov_b32 s12, 0xe976ee23
	;; [unrolled: 1-line block ×4, first 2 shown]
	v_lshrrev_b16 v4, 8, v4
	s_mov_b32 s3, 0x3fe948f6
	s_mov_b32 s13, 0xbfe11646
	;; [unrolled: 1-line block ×4, first 2 shown]
	v_sub_nc_u16 v5, v90, v4
	s_mov_b32 s16, 0xaaaaaaaa
	s_mov_b32 s18, 0x5476071b
	s_mov_b32 s22, 0xb247c609
	s_mov_b32 s17, 0xbff2aaaa
	v_lshrrev_b16 v5, 1, v5
	s_mov_b32 s19, 0x3fe77f67
	s_mov_b32 s21, 0xbfe77f67
	;; [unrolled: 1-line block ×4, first 2 shown]
	v_and_b32_e32 v5, 0x7f, v5
	s_wait_alu 0xfffe
	s_mov_b32 s20, s18
	s_mov_b32 s24, s22
	;; [unrolled: 1-line block ×4, first 2 shown]
	v_add_nc_u16 v4, v5, v4
	v_cmp_gt_u32_e64 s0, 0x4d, v90
	s_delay_alu instid0(VALU_DEP_2) | instskip(NEXT) | instid1(VALU_DEP_1)
	v_lshrrev_b16 v76, 3, v4
	v_mul_lo_u16 v4, v76, 11
	s_delay_alu instid0(VALU_DEP_1) | instskip(NEXT) | instid1(VALU_DEP_1)
	v_sub_nc_u16 v4, v90, v4
	v_and_b32_e32 v77, 0xff, v4
	s_delay_alu instid0(VALU_DEP_1) | instskip(NEXT) | instid1(VALU_DEP_1)
	v_mul_u32_u24_e32 v4, 6, v77
	v_lshlrev_b32_e32 v4, 4, v4
	s_clause 0x5
	global_load_b128 v[10:13], v4, s[4:5]
	global_load_b128 v[18:21], v4, s[4:5] offset:16
	global_load_b128 v[22:25], v4, s[4:5] offset:80
	;; [unrolled: 1-line block ×5, first 2 shown]
	ds_load_2addr_b64 v[4:7], v86 offset1:99
	ds_load_2addr_b64 v[32:35], v87 offset0:70 offset1:169
	ds_load_b64 v[46:47], v86 offset:4752
	ds_load_2addr_b64 v[68:71], v88 offset0:140 offset1:239
	global_wb scope:SCOPE_SE
	s_wait_loadcnt_dscnt 0x0
	s_barrier_signal -1
	s_barrier_wait -1
	global_inv scope:SCOPE_SE
	v_mul_f64_e32 v[14:15], v[6:7], v[12:13]
	v_mul_f64_e32 v[16:17], v[32:33], v[20:21]
	;; [unrolled: 1-line block ×12, first 2 shown]
	v_fma_f64 v[14:15], v[50:51], v[10:11], -v[14:15]
	v_fma_f64 v[26:27], v[56:57], v[18:19], -v[16:17]
	;; [unrolled: 1-line block ×4, first 2 shown]
	v_fma_f64 v[6:7], v[6:7], v[10:11], v[12:13]
	v_fma_f64 v[32:33], v[32:33], v[18:19], v[20:21]
	v_fma_f64 v[28:29], v[58:59], v[42:43], -v[72:73]
	v_fma_f64 v[34:35], v[34:35], v[42:43], v[44:45]
	v_fma_f64 v[42:43], v[70:71], v[38:39], v[40:41]
	v_fma_f64 v[38:39], v[52:53], v[64:65], -v[74:75]
	v_fma_f64 v[40:41], v[68:69], v[64:65], v[66:67]
	v_fma_f64 v[44:45], v[46:47], v[22:23], v[24:25]
	v_add_f64_e32 v[0:1], v[14:15], v[16:17]
	v_add_f64_e32 v[12:13], v[26:27], v[30:31]
	v_add_f64_e64 v[10:11], v[32:33], -v[42:43]
	v_add_f64_e32 v[18:19], v[28:29], v[38:39]
	v_add_f64_e64 v[20:21], v[40:41], -v[34:35]
	v_add_f64_e64 v[22:23], v[6:7], -v[44:45]
	v_add_f64_e32 v[24:25], v[12:13], v[0:1]
	s_delay_alu instid0(VALU_DEP_4) | instskip(NEXT) | instid1(VALU_DEP_4)
	v_add_f64_e64 v[46:47], v[0:1], -v[18:19]
	v_add_f64_e64 v[50:51], v[20:21], -v[10:11]
	s_delay_alu instid0(VALU_DEP_4)
	v_add_f64_e64 v[52:53], v[10:11], -v[22:23]
	v_add_f64_e32 v[54:55], v[20:21], v[10:11]
	v_add_f64_e64 v[20:21], v[22:23], -v[20:21]
	v_add_f64_e64 v[0:1], v[12:13], -v[0:1]
	v_add_f64_e32 v[24:25], v[18:19], v[24:25]
	v_add_f64_e64 v[18:19], v[18:19], -v[12:13]
	v_mul_f64_e32 v[46:47], s[2:3], v[46:47]
	v_mul_f64_e32 v[50:51], s[12:13], v[50:51]
	;; [unrolled: 1-line block ×3, first 2 shown]
	v_add_f64_e32 v[22:23], v[54:55], v[22:23]
	v_add_f64_e32 v[10:11], v[48:49], v[24:25]
	v_mul_f64_e32 v[12:13], s[14:15], v[18:19]
	v_fma_f64 v[18:19], v[18:19], s[14:15], v[46:47]
	v_fma_f64 v[48:49], v[20:21], s[22:23], v[50:51]
	v_fma_f64 v[50:51], v[52:53], s[6:7], -v[50:51]
	s_wait_alu 0xfffe
	v_fma_f64 v[20:21], v[20:21], s[24:25], -v[56:57]
	v_fma_f64 v[46:47], v[0:1], s[20:21], -v[46:47]
	v_fma_f64 v[24:25], v[24:25], s[16:17], v[10:11]
	v_fma_f64 v[0:1], v[0:1], s[18:19], -v[12:13]
	v_fma_f64 v[48:49], v[22:23], s[26:27], v[48:49]
	v_fma_f64 v[50:51], v[22:23], s[26:27], v[50:51]
	;; [unrolled: 1-line block ×3, first 2 shown]
	v_add_f64_e32 v[54:55], v[18:19], v[24:25]
	v_add_f64_e32 v[46:47], v[46:47], v[24:25]
	;; [unrolled: 1-line block ×3, first 2 shown]
	s_delay_alu instid0(VALU_DEP_3) | instskip(NEXT) | instid1(VALU_DEP_3)
	v_add_f64_e32 v[12:13], v[48:49], v[54:55]
	v_add_f64_e32 v[18:19], v[52:53], v[46:47]
	s_delay_alu instid0(VALU_DEP_3)
	v_add_f64_e64 v[20:21], v[0:1], -v[50:51]
	v_add_f64_e32 v[22:23], v[50:51], v[0:1]
	v_add_f64_e64 v[24:25], v[46:47], -v[52:53]
	v_add_f64_e64 v[0:1], v[54:55], -v[48:49]
	v_and_b32_e32 v46, 0xffff, v76
	v_lshlrev_b32_e32 v47, 3, v77
	s_delay_alu instid0(VALU_DEP_2) | instskip(NEXT) | instid1(VALU_DEP_1)
	v_mul_u32_u24_e32 v46, 0x268, v46
	v_add3_u32 v46, 0, v46, v47
	ds_store_2addr_b64 v46, v[10:11], v[12:13] offset1:11
	ds_store_2addr_b64 v46, v[18:19], v[20:21] offset0:22 offset1:33
	ds_store_2addr_b64 v46, v[22:23], v[24:25] offset0:44 offset1:55
	ds_store_b64 v46, v[0:1] offset:528
	global_wb scope:SCOPE_SE
	s_wait_dscnt 0x0
	s_barrier_signal -1
	s_barrier_wait -1
	global_inv scope:SCOPE_SE
	s_and_saveexec_b32 s1, s0
	s_cbranch_execz .LBB0_17
; %bb.16:
	v_add_nc_u32_e32 v0, 0x800, v86
	v_add_nc_u32_e32 v1, 0xc00, v86
	ds_load_2addr_b64 v[10:13], v86 offset1:77
	ds_load_2addr_b64 v[18:21], v86 offset0:154 offset1:231
	ds_load_2addr_b64 v[22:25], v0 offset0:52 offset1:129
	;; [unrolled: 1-line block ×3, first 2 shown]
	ds_load_b64 v[62:63], v86 offset:4928
.LBB0_17:
	s_wait_alu 0xfffe
	s_or_b32 exec_lo, exec_lo, s1
	v_add_f64_e32 v[6:7], v[6:7], v[44:45]
	v_add_f64_e32 v[32:33], v[32:33], v[42:43]
	v_add_f64_e64 v[26:27], v[26:27], -v[30:31]
	v_add_f64_e32 v[30:31], v[34:35], v[40:41]
	v_add_f64_e64 v[28:29], v[38:39], -v[28:29]
	v_add_f64_e64 v[16:17], v[14:15], -v[16:17]
	global_wb scope:SCOPE_SE
	s_wait_dscnt 0x0
	s_barrier_signal -1
	s_barrier_wait -1
	global_inv scope:SCOPE_SE
	v_add_f64_e32 v[14:15], v[32:33], v[6:7]
	v_add_f64_e64 v[34:35], v[6:7], -v[30:31]
	v_add_f64_e64 v[38:39], v[28:29], -v[26:27]
	;; [unrolled: 1-line block ×3, first 2 shown]
	v_add_f64_e32 v[26:27], v[28:29], v[26:27]
	v_add_f64_e64 v[28:29], v[16:17], -v[28:29]
	v_add_f64_e32 v[42:43], v[30:31], v[14:15]
	v_add_f64_e64 v[30:31], v[30:31], -v[32:33]
	v_mul_f64_e32 v[34:35], s[2:3], v[34:35]
	v_mul_f64_e32 v[38:39], s[12:13], v[38:39]
	;; [unrolled: 1-line block ×3, first 2 shown]
	v_add_f64_e32 v[16:17], v[26:27], v[16:17]
	v_add_f64_e32 v[14:15], v[4:5], v[42:43]
	v_add_f64_e64 v[4:5], v[32:33], -v[6:7]
	v_mul_f64_e32 v[6:7], s[14:15], v[30:31]
	v_fma_f64 v[26:27], v[30:31], s[14:15], v[34:35]
	v_fma_f64 v[30:31], v[28:29], s[22:23], v[38:39]
	v_fma_f64 v[32:33], v[40:41], s[6:7], -v[38:39]
	v_fma_f64 v[28:29], v[28:29], s[24:25], -v[44:45]
	v_fma_f64 v[38:39], v[42:43], s[16:17], v[14:15]
	v_fma_f64 v[34:35], v[4:5], s[20:21], -v[34:35]
	v_fma_f64 v[4:5], v[4:5], s[18:19], -v[6:7]
	v_fma_f64 v[6:7], v[16:17], s[26:27], v[30:31]
	v_fma_f64 v[30:31], v[16:17], s[26:27], v[32:33]
	;; [unrolled: 1-line block ×3, first 2 shown]
	v_add_f64_e32 v[40:41], v[26:27], v[38:39]
	v_add_f64_e32 v[34:35], v[34:35], v[38:39]
	;; [unrolled: 1-line block ×3, first 2 shown]
	s_delay_alu instid0(VALU_DEP_3) | instskip(NEXT) | instid1(VALU_DEP_3)
	v_add_f64_e64 v[16:17], v[40:41], -v[6:7]
	v_add_f64_e64 v[26:27], v[34:35], -v[32:33]
	s_delay_alu instid0(VALU_DEP_3)
	v_add_f64_e32 v[28:29], v[30:31], v[4:5]
	v_add_f64_e64 v[30:31], v[4:5], -v[30:31]
	v_add_f64_e32 v[32:33], v[32:33], v[34:35]
	v_add_f64_e32 v[6:7], v[6:7], v[40:41]
	ds_store_2addr_b64 v46, v[14:15], v[16:17] offset1:11
	ds_store_2addr_b64 v46, v[26:27], v[28:29] offset0:22 offset1:33
	ds_store_2addr_b64 v46, v[30:31], v[32:33] offset0:44 offset1:55
	ds_store_b64 v46, v[6:7] offset:528
	global_wb scope:SCOPE_SE
	s_wait_dscnt 0x0
	s_barrier_signal -1
	s_barrier_wait -1
	global_inv scope:SCOPE_SE
	s_and_saveexec_b32 s1, s0
	s_cbranch_execnz .LBB0_20
; %bb.18:
	s_wait_alu 0xfffe
	s_or_b32 exec_lo, exec_lo, s1
	s_and_b32 s0, vcc_lo, s0
	s_wait_alu 0xfffe
	s_and_saveexec_b32 s1, s0
	s_cbranch_execnz .LBB0_21
.LBB0_19:
	s_endpgm
.LBB0_20:
	v_add_nc_u32_e32 v4, 0x800, v86
	v_add_nc_u32_e32 v5, 0xc00, v86
	ds_load_2addr_b64 v[14:17], v86 offset1:77
	ds_load_2addr_b64 v[26:29], v86 offset0:154 offset1:231
	ds_load_2addr_b64 v[30:33], v4 offset0:52 offset1:129
	ds_load_2addr_b64 v[6:9], v5 offset0:78 offset1:155
	ds_load_b64 v[36:37], v86 offset:4928
	s_wait_alu 0xfffe
	s_or_b32 exec_lo, exec_lo, s1
	s_and_b32 s0, vcc_lo, s0
	s_wait_alu 0xfffe
	s_and_saveexec_b32 s1, s0
	s_cbranch_execz .LBB0_19
.LBB0_21:
	v_dual_mov_b32 v5, 0 :: v_dual_lshlrev_b32 v4, 3, v90
	s_mov_b32 s0, 0x8c811c17
	s_mov_b32 s1, 0x3fef838b
	;; [unrolled: 1-line block ×4, first 2 shown]
	v_lshlrev_b64_e32 v[4:5], 4, v[4:5]
	s_mov_b32 s6, 0x42522d1b
	s_mov_b32 s7, 0xbfee11f6
	v_add_nc_u32_e32 v92, 0x134, v90
	v_add_nc_u32_e32 v95, 0x21b, v90
	s_delay_alu instid0(VALU_DEP_3)
	v_add_co_u32 v4, vcc_lo, s4, v4
	s_wait_alu 0xfffd
	v_add_co_ci_u32_e32 v5, vcc_lo, s5, v5, vcc_lo
	s_mov_b32 s4, 0xa2cf5039
	s_mov_b32 s5, 0x3fe8836f
	s_clause 0x7
	global_load_b128 v[38:41], v[4:5], off offset:1104
	global_load_b128 v[42:45], v[4:5], off offset:1120
	;; [unrolled: 1-line block ×8, first 2 shown]
	s_wait_loadcnt_dscnt 0x702
	v_mul_f64_e32 v[4:5], v[30:31], v[40:41]
	s_wait_loadcnt 0x6
	v_mul_f64_e32 v[34:35], v[32:33], v[44:45]
	v_mul_f64_e32 v[40:41], v[22:23], v[40:41]
	;; [unrolled: 1-line block ×3, first 2 shown]
	s_wait_loadcnt 0x5
	v_mul_f64_e32 v[58:59], v[26:27], v[48:49]
	s_wait_loadcnt_dscnt 0x401
	v_mul_f64_e32 v[76:77], v[8:9], v[52:53]
	v_mul_f64_e32 v[48:49], v[18:19], v[48:49]
	;; [unrolled: 1-line block ×3, first 2 shown]
	s_wait_loadcnt 0x3
	v_mul_f64_e32 v[78:79], v[12:13], v[56:57]
	s_wait_loadcnt 0x2
	v_mul_f64_e32 v[80:81], v[62:63], v[66:67]
	v_mul_f64_e32 v[56:57], v[16:17], v[56:57]
	s_wait_dscnt 0x0
	v_mul_f64_e32 v[66:67], v[36:37], v[66:67]
	v_fma_f64 v[4:5], v[22:23], v[38:39], -v[4:5]
	v_fma_f64 v[22:23], v[24:25], v[42:43], -v[34:35]
	v_fma_f64 v[24:25], v[30:31], v[38:39], v[40:41]
	v_fma_f64 v[30:31], v[32:33], v[42:43], v[44:45]
	s_wait_loadcnt 0x1
	v_mul_f64_e32 v[32:33], v[28:29], v[70:71]
	v_mul_f64_e32 v[38:39], v[20:21], v[70:71]
	v_fma_f64 v[18:19], v[18:19], v[46:47], -v[58:59]
	v_fma_f64 v[2:3], v[2:3], v[50:51], -v[76:77]
	v_fma_f64 v[26:27], v[26:27], v[46:47], v[48:49]
	v_fma_f64 v[8:9], v[8:9], v[50:51], v[52:53]
	s_wait_loadcnt 0x0
	v_mul_f64_e32 v[34:35], v[6:7], v[74:75]
	v_mul_f64_e32 v[40:41], v[0:1], v[74:75]
	v_fma_f64 v[16:17], v[16:17], v[54:55], v[78:79]
	v_fma_f64 v[36:37], v[36:37], v[64:65], v[80:81]
	v_fma_f64 v[12:13], v[12:13], v[54:55], -v[56:57]
	v_fma_f64 v[42:43], v[62:63], v[64:65], -v[66:67]
	v_mad_co_u64_u32 v[78:79], null, s8, v90, 0
	v_add_nc_u32_e32 v89, 0x9a, v90
	v_add_f64_e64 v[44:45], v[4:5], -v[22:23]
	v_add_f64_e64 v[46:47], v[24:25], -v[30:31]
	v_fma_f64 v[20:21], v[20:21], v[68:69], -v[32:33]
	v_fma_f64 v[28:29], v[28:29], v[68:69], v[38:39]
	v_add_f64_e32 v[48:49], v[24:25], v[30:31]
	v_add_f64_e32 v[38:39], v[18:19], v[2:3]
	v_add_f64_e64 v[2:3], v[18:19], -v[2:3]
	v_add_f64_e32 v[32:33], v[26:27], v[8:9]
	v_add_f64_e64 v[8:9], v[26:27], -v[8:9]
	v_fma_f64 v[0:1], v[0:1], v[72:73], -v[34:35]
	v_fma_f64 v[6:7], v[6:7], v[72:73], v[40:41]
	v_add_f64_e32 v[34:35], v[16:17], v[36:37]
	v_add_f64_e32 v[18:19], v[4:5], v[22:23]
	;; [unrolled: 1-line block ×3, first 2 shown]
	v_add_f64_e64 v[12:13], v[12:13], -v[42:43]
	v_add_f64_e64 v[16:17], v[16:17], -v[36:37]
	s_wait_alu 0xfffe
	v_mul_f64_e32 v[26:27], s[0:1], v[44:45]
	v_mul_f64_e32 v[62:63], s[2:3], v[44:45]
	;; [unrolled: 1-line block ×4, first 2 shown]
	v_fma_f64 v[64:65], v[48:49], s[4:5], v[14:15]
	v_fma_f64 v[54:55], v[38:39], s[4:5], v[10:11]
	;; [unrolled: 1-line block ×3, first 2 shown]
	v_add_f64_e32 v[42:43], v[20:21], v[0:1]
	v_add_f64_e32 v[36:37], v[28:29], v[6:7]
	;; [unrolled: 1-line block ×3, first 2 shown]
	v_fma_f64 v[68:69], v[18:19], s[4:5], v[10:11]
	v_add_f64_e32 v[58:59], v[38:39], v[40:41]
	v_fma_f64 v[70:71], v[34:35], s[4:5], v[14:15]
	v_fma_f64 v[72:73], v[40:41], s[4:5], v[10:11]
	v_add_f64_e64 v[0:1], v[20:21], -v[0:1]
	v_add_f64_e64 v[6:7], v[28:29], -v[6:7]
	v_add_f64_e32 v[80:81], v[44:45], v[12:13]
	v_add_f64_e32 v[84:85], v[46:47], v[16:17]
	s_mov_b32 s4, 0x748a0bf8
	s_mov_b32 s5, 0x3fd5e3a8
	v_fma_f64 v[26:27], v[2:3], s[2:3], -v[26:27]
	v_fma_f64 v[62:63], v[12:13], s[0:1], v[62:63]
	v_fma_f64 v[50:51], v[8:9], s[2:3], -v[50:51]
	s_mov_b32 s3, 0x3fe491b7
	v_fma_f64 v[66:67], v[16:17], s[0:1], v[66:67]
	s_wait_alu 0xfffe
	v_mul_f64_e32 v[74:75], s[2:3], v[12:13]
	v_mul_f64_e32 v[76:77], s[2:3], v[16:17]
	s_mov_b32 s2, 0x7e0b738b
	s_mov_b32 s3, 0x3fc63a1a
	s_wait_alu 0xfffe
	v_fma_f64 v[20:21], v[48:49], s[2:3], v[52:53]
	v_fma_f64 v[28:29], v[18:19], s[2:3], v[54:55]
	v_add_f64_e32 v[52:53], v[36:37], v[56:57]
	v_fma_f64 v[64:65], v[34:35], s[2:3], v[64:65]
	v_add_f64_e32 v[54:55], v[42:43], v[58:59]
	v_fma_f64 v[68:69], v[40:41], s[2:3], v[68:69]
	v_fma_f64 v[70:71], v[32:33], s[2:3], v[70:71]
	;; [unrolled: 1-line block ×3, first 2 shown]
	s_mov_b32 s3, 0xbfebb67a
	v_add_f64_e32 v[82:83], v[14:15], v[36:37]
	v_add_f64_e32 v[86:87], v[10:11], v[42:43]
	;; [unrolled: 1-line block ×4, first 2 shown]
	v_fma_f64 v[74:75], v[2:3], s[0:1], v[74:75]
	v_fma_f64 v[76:77], v[8:9], s[0:1], v[76:77]
	s_mov_b32 s0, 0xe8584cab
	s_mov_b32 s1, 0x3febb67a
	s_wait_alu 0xfffe
	s_mov_b32 s2, s0
	v_fma_f64 v[26:27], v[0:1], s[0:1], v[26:27]
	v_fma_f64 v[20:21], v[36:37], -0.5, v[20:21]
	v_fma_f64 v[50:51], v[6:7], s[0:1], v[50:51]
	v_fma_f64 v[28:29], v[42:43], -0.5, v[28:29]
	v_add_f64_e32 v[24:25], v[24:25], v[52:53]
	v_add_f64_e32 v[4:5], v[4:5], v[54:55]
	s_wait_alu 0xfffe
	v_fma_f64 v[52:53], v[0:1], s[2:3], v[62:63]
	v_fma_f64 v[54:55], v[36:37], -0.5, v[64:65]
	v_fma_f64 v[62:63], v[6:7], s[2:3], v[66:67]
	v_fma_f64 v[64:65], v[42:43], -0.5, v[68:69]
	v_fma_f64 v[36:37], v[36:37], -0.5, v[70:71]
	v_fma_f64 v[42:43], v[42:43], -0.5, v[72:73]
	v_add_f64_e64 v[72:73], v[80:81], -v[2:3]
	v_fma_f64 v[56:57], v[56:57], -0.5, v[82:83]
	v_fma_f64 v[58:59], v[58:59], -0.5, v[86:87]
	v_mad_co_u64_u32 v[70:71], null, s8, v92, 0
	v_fma_f64 v[0:1], v[0:1], s[0:1], v[74:75]
	v_fma_f64 v[6:7], v[6:7], s[0:1], v[76:77]
	v_add_f64_e64 v[74:75], v[84:85], -v[8:9]
	v_add_co_u32 v76, vcc_lo, s10, v60
	v_fma_f64 v[26:27], v[12:13], s[4:5], v[26:27]
	v_fma_f64 v[12:13], v[34:35], s[6:7], v[20:21]
	;; [unrolled: 1-line block ×4, first 2 shown]
	v_add_f64_e32 v[20:21], v[30:31], v[24:25]
	v_add_f64_e32 v[22:23], v[22:23], v[4:5]
	v_fma_f64 v[30:31], v[2:3], s[4:5], v[52:53]
	v_fma_f64 v[24:25], v[32:33], s[6:7], v[54:55]
	;; [unrolled: 1-line block ×6, first 2 shown]
	s_wait_alu 0xfffd
	v_add_co_ci_u32_e32 v77, vcc_lo, s11, v61, vcc_lo
	v_mov_b32_e32 v3, v71
	v_fma_f64 v[36:37], v[44:45], s[4:5], v[0:1]
	v_mov_b32_e32 v0, v79
	v_fma_f64 v[38:39], v[46:47], s[4:5], v[6:7]
	v_mad_co_u64_u32 v[66:67], null, s8, v89, 0
	v_add_nc_u32_e32 v88, 0x4d, v90
	s_delay_alu instid0(VALU_DEP_4)
	v_mad_co_u64_u32 v[48:49], null, s9, v90, v[0:1]
	v_add_f64_e64 v[6:7], v[12:13], -v[26:27]
	v_mul_f64_e32 v[62:63], s[0:1], v[74:75]
	v_add_f64_e32 v[12:13], v[14:15], v[20:21]
	v_mov_b32_e32 v1, v67
	v_mad_co_u64_u32 v[60:61], null, s8, v88, 0
	v_add_nc_u32_e32 v91, 0xe7, v90
	v_add_f64_e32 v[14:15], v[8:9], v[28:29]
	v_add_f64_e32 v[10:11], v[10:11], v[22:23]
	v_dual_mov_b32 v79, v48 :: v_dual_add_nc_u32 v94, 0x1ce, v90
	v_mad_co_u64_u32 v[44:45], null, s8, v95, 0
	v_mov_b32_e32 v0, v61
	v_mad_co_u64_u32 v[68:69], null, s8, v91, 0
	v_add_nc_u32_e32 v93, 0x181, v90
	v_lshlrev_b64_e32 v[22:23], 4, v[78:79]
	s_delay_alu instid0(VALU_DEP_4)
	v_mad_co_u64_u32 v[49:50], null, s9, v88, v[0:1]
	v_add_nc_u32_e32 v96, 0x268, v90
	v_mad_co_u64_u32 v[42:43], null, s8, v94, 0
	v_mov_b32_e32 v2, v69
	v_mad_co_u64_u32 v[40:41], null, s8, v93, 0
	v_mov_b32_e32 v61, v49
	v_add_co_u32 v48, vcc_lo, v76, v22
	s_delay_alu instid0(VALU_DEP_4)
	v_mad_co_u64_u32 v[50:51], null, s9, v89, v[1:2]
	v_mad_co_u64_u32 v[51:52], null, s9, v91, v[2:3]
	;; [unrolled: 1-line block ×3, first 2 shown]
	v_add_f64_e32 v[4:5], v[34:35], v[16:17]
	v_mul_f64_e32 v[53:54], s[0:1], v[72:73]
	v_fma_f64 v[2:3], v[72:73], s[2:3], v[56:57]
	v_fma_f64 v[0:1], v[74:75], s[0:1], v[58:59]
	v_add_f64_e64 v[16:17], v[24:25], -v[30:31]
	v_add_f64_e64 v[20:21], v[32:33], -v[36:37]
	v_add_f64_e32 v[18:19], v[38:39], v[18:19]
	v_mov_b32_e32 v67, v50
	v_lshlrev_b64_e32 v[24:25], 4, v[60:61]
	v_mov_b32_e32 v69, v51
	s_wait_alu 0xfffd
	v_add_co_ci_u32_e32 v49, vcc_lo, v77, v23, vcc_lo
	v_lshlrev_b64_e32 v[28:29], 4, v[66:67]
	v_mad_co_u64_u32 v[55:56], null, s9, v93, v[41:42]
	v_lshlrev_b64_e32 v[32:33], 4, v[68:69]
	v_add_co_u32 v50, vcc_lo, v76, v24
	v_mad_co_u64_u32 v[56:57], null, s9, v94, v[43:44]
	s_wait_alu 0xfffd
	v_add_co_ci_u32_e32 v51, vcc_lo, v77, v25, vcc_lo
	v_add_co_u32 v57, vcc_lo, v76, v28
	s_wait_alu 0xfffd
	v_add_co_ci_u32_e32 v58, vcc_lo, v77, v29, vcc_lo
	v_add_co_u32 v59, vcc_lo, v76, v32
	v_fma_f64 v[28:29], v[26:27], 2.0, v[6:7]
	v_mad_co_u64_u32 v[46:47], null, s8, v96, 0
	s_wait_alu 0xfffd
	v_add_co_ci_u32_e32 v60, vcc_lo, v77, v33, vcc_lo
	global_store_b128 v[48:49], v[10:13], off
	v_mov_b32_e32 v71, v52
	s_clause 0x2
	global_store_b128 v[50:51], v[18:21], off
	global_store_b128 v[57:58], v[14:17], off
	;; [unrolled: 1-line block ×3, first 2 shown]
	v_fma_f64 v[26:27], v[34:35], -2.0, v[4:5]
	v_fma_f64 v[24:25], v[53:54], 2.0, v[2:3]
	v_fma_f64 v[22:23], v[62:63], -2.0, v[0:1]
	v_fma_f64 v[32:33], v[30:31], 2.0, v[16:17]
	;; [unrolled: 2-line block ×3, first 2 shown]
	v_fma_f64 v[8:9], v[38:39], -2.0, v[18:19]
	v_mad_co_u64_u32 v[2:3], null, s9, v95, v[45:46]
	v_mov_b32_e32 v3, v47
	v_mov_b32_e32 v41, v55
	v_lshlrev_b64_e32 v[0:1], 4, v[70:71]
	v_mov_b32_e32 v43, v56
	s_delay_alu instid0(VALU_DEP_4) | instskip(NEXT) | instid1(VALU_DEP_4)
	v_mad_co_u64_u32 v[14:15], null, s9, v96, v[3:4]
	v_lshlrev_b64_e32 v[12:13], 4, v[40:41]
	s_delay_alu instid0(VALU_DEP_4) | instskip(NEXT) | instid1(VALU_DEP_4)
	v_add_co_u32 v0, vcc_lo, v76, v0
	v_lshlrev_b64_e32 v[15:16], 4, v[42:43]
	v_mov_b32_e32 v45, v2
	s_wait_alu 0xfffd
	v_add_co_ci_u32_e32 v1, vcc_lo, v77, v1, vcc_lo
	v_add_co_u32 v2, vcc_lo, v76, v12
	v_mov_b32_e32 v47, v14
	s_wait_alu 0xfffd
	v_add_co_ci_u32_e32 v3, vcc_lo, v77, v13, vcc_lo
	v_lshlrev_b64_e32 v[12:13], 4, v[44:45]
	v_add_co_u32 v14, vcc_lo, v76, v15
	s_wait_alu 0xfffd
	v_add_co_ci_u32_e32 v15, vcc_lo, v77, v16, vcc_lo
	v_lshlrev_b64_e32 v[16:17], 4, v[46:47]
	s_delay_alu instid0(VALU_DEP_4) | instskip(SKIP_2) | instid1(VALU_DEP_3)
	v_add_co_u32 v12, vcc_lo, v76, v12
	s_wait_alu 0xfffd
	v_add_co_ci_u32_e32 v13, vcc_lo, v77, v13, vcc_lo
	v_add_co_u32 v16, vcc_lo, v76, v16
	s_wait_alu 0xfffd
	v_add_co_ci_u32_e32 v17, vcc_lo, v77, v17, vcc_lo
	s_clause 0x4
	global_store_b128 v[0:1], v[4:7], off
	global_store_b128 v[2:3], v[26:29], off
	global_store_b128 v[14:15], v[22:25], off
	global_store_b128 v[12:13], v[30:33], off
	global_store_b128 v[16:17], v[8:11], off
	s_nop 0
	s_sendmsg sendmsg(MSG_DEALLOC_VGPRS)
	s_endpgm
	.section	.rodata,"a",@progbits
	.p2align	6, 0x0
	.amdhsa_kernel fft_rtc_fwd_len693_factors_11_7_9_wgs_99_tpt_99_halfLds_dp_ip_CI_sbrr_dirReg
		.amdhsa_group_segment_fixed_size 0
		.amdhsa_private_segment_fixed_size 0
		.amdhsa_kernarg_size 88
		.amdhsa_user_sgpr_count 2
		.amdhsa_user_sgpr_dispatch_ptr 0
		.amdhsa_user_sgpr_queue_ptr 0
		.amdhsa_user_sgpr_kernarg_segment_ptr 1
		.amdhsa_user_sgpr_dispatch_id 0
		.amdhsa_user_sgpr_private_segment_size 0
		.amdhsa_wavefront_size32 1
		.amdhsa_uses_dynamic_stack 0
		.amdhsa_enable_private_segment 0
		.amdhsa_system_sgpr_workgroup_id_x 1
		.amdhsa_system_sgpr_workgroup_id_y 0
		.amdhsa_system_sgpr_workgroup_id_z 0
		.amdhsa_system_sgpr_workgroup_info 0
		.amdhsa_system_vgpr_workitem_id 0
		.amdhsa_next_free_vgpr 125
		.amdhsa_next_free_sgpr 38
		.amdhsa_reserve_vcc 1
		.amdhsa_float_round_mode_32 0
		.amdhsa_float_round_mode_16_64 0
		.amdhsa_float_denorm_mode_32 3
		.amdhsa_float_denorm_mode_16_64 3
		.amdhsa_fp16_overflow 0
		.amdhsa_workgroup_processor_mode 1
		.amdhsa_memory_ordered 1
		.amdhsa_forward_progress 0
		.amdhsa_round_robin_scheduling 0
		.amdhsa_exception_fp_ieee_invalid_op 0
		.amdhsa_exception_fp_denorm_src 0
		.amdhsa_exception_fp_ieee_div_zero 0
		.amdhsa_exception_fp_ieee_overflow 0
		.amdhsa_exception_fp_ieee_underflow 0
		.amdhsa_exception_fp_ieee_inexact 0
		.amdhsa_exception_int_div_zero 0
	.end_amdhsa_kernel
	.text
.Lfunc_end0:
	.size	fft_rtc_fwd_len693_factors_11_7_9_wgs_99_tpt_99_halfLds_dp_ip_CI_sbrr_dirReg, .Lfunc_end0-fft_rtc_fwd_len693_factors_11_7_9_wgs_99_tpt_99_halfLds_dp_ip_CI_sbrr_dirReg
                                        ; -- End function
	.section	.AMDGPU.csdata,"",@progbits
; Kernel info:
; codeLenInByte = 7880
; NumSgprs: 40
; NumVgprs: 125
; ScratchSize: 0
; MemoryBound: 1
; FloatMode: 240
; IeeeMode: 1
; LDSByteSize: 0 bytes/workgroup (compile time only)
; SGPRBlocks: 4
; VGPRBlocks: 15
; NumSGPRsForWavesPerEU: 40
; NumVGPRsForWavesPerEU: 125
; Occupancy: 10
; WaveLimiterHint : 1
; COMPUTE_PGM_RSRC2:SCRATCH_EN: 0
; COMPUTE_PGM_RSRC2:USER_SGPR: 2
; COMPUTE_PGM_RSRC2:TRAP_HANDLER: 0
; COMPUTE_PGM_RSRC2:TGID_X_EN: 1
; COMPUTE_PGM_RSRC2:TGID_Y_EN: 0
; COMPUTE_PGM_RSRC2:TGID_Z_EN: 0
; COMPUTE_PGM_RSRC2:TIDIG_COMP_CNT: 0
	.text
	.p2alignl 7, 3214868480
	.fill 96, 4, 3214868480
	.type	__hip_cuid_4ed26d566ad1c124,@object ; @__hip_cuid_4ed26d566ad1c124
	.section	.bss,"aw",@nobits
	.globl	__hip_cuid_4ed26d566ad1c124
__hip_cuid_4ed26d566ad1c124:
	.byte	0                               ; 0x0
	.size	__hip_cuid_4ed26d566ad1c124, 1

	.ident	"AMD clang version 19.0.0git (https://github.com/RadeonOpenCompute/llvm-project roc-6.4.0 25133 c7fe45cf4b819c5991fe208aaa96edf142730f1d)"
	.section	".note.GNU-stack","",@progbits
	.addrsig
	.addrsig_sym __hip_cuid_4ed26d566ad1c124
	.amdgpu_metadata
---
amdhsa.kernels:
  - .args:
      - .actual_access:  read_only
        .address_space:  global
        .offset:         0
        .size:           8
        .value_kind:     global_buffer
      - .offset:         8
        .size:           8
        .value_kind:     by_value
      - .actual_access:  read_only
        .address_space:  global
        .offset:         16
        .size:           8
        .value_kind:     global_buffer
      - .actual_access:  read_only
        .address_space:  global
        .offset:         24
        .size:           8
        .value_kind:     global_buffer
      - .offset:         32
        .size:           8
        .value_kind:     by_value
      - .actual_access:  read_only
        .address_space:  global
        .offset:         40
        .size:           8
        .value_kind:     global_buffer
      - .actual_access:  read_only
        .address_space:  global
        .offset:         48
        .size:           8
        .value_kind:     global_buffer
      - .offset:         56
        .size:           4
        .value_kind:     by_value
      - .actual_access:  read_only
        .address_space:  global
        .offset:         64
        .size:           8
        .value_kind:     global_buffer
      - .actual_access:  read_only
        .address_space:  global
        .offset:         72
        .size:           8
        .value_kind:     global_buffer
      - .address_space:  global
        .offset:         80
        .size:           8
        .value_kind:     global_buffer
    .group_segment_fixed_size: 0
    .kernarg_segment_align: 8
    .kernarg_segment_size: 88
    .language:       OpenCL C
    .language_version:
      - 2
      - 0
    .max_flat_workgroup_size: 99
    .name:           fft_rtc_fwd_len693_factors_11_7_9_wgs_99_tpt_99_halfLds_dp_ip_CI_sbrr_dirReg
    .private_segment_fixed_size: 0
    .sgpr_count:     40
    .sgpr_spill_count: 0
    .symbol:         fft_rtc_fwd_len693_factors_11_7_9_wgs_99_tpt_99_halfLds_dp_ip_CI_sbrr_dirReg.kd
    .uniform_work_group_size: 1
    .uses_dynamic_stack: false
    .vgpr_count:     125
    .vgpr_spill_count: 0
    .wavefront_size: 32
    .workgroup_processor_mode: 1
amdhsa.target:   amdgcn-amd-amdhsa--gfx1201
amdhsa.version:
  - 1
  - 2
...

	.end_amdgpu_metadata
